;; amdgpu-corpus repo=ROCm/rocFFT kind=compiled arch=gfx1030 opt=O3
	.text
	.amdgcn_target "amdgcn-amd-amdhsa--gfx1030"
	.amdhsa_code_object_version 6
	.protected	fft_rtc_back_len1664_factors_13_2_2_4_2_2_2_wgs_208_tpt_208_halfLds_dp_op_CI_CI_unitstride_sbrr_C2R_dirReg ; -- Begin function fft_rtc_back_len1664_factors_13_2_2_4_2_2_2_wgs_208_tpt_208_halfLds_dp_op_CI_CI_unitstride_sbrr_C2R_dirReg
	.globl	fft_rtc_back_len1664_factors_13_2_2_4_2_2_2_wgs_208_tpt_208_halfLds_dp_op_CI_CI_unitstride_sbrr_C2R_dirReg
	.p2align	8
	.type	fft_rtc_back_len1664_factors_13_2_2_4_2_2_2_wgs_208_tpt_208_halfLds_dp_op_CI_CI_unitstride_sbrr_C2R_dirReg,@function
fft_rtc_back_len1664_factors_13_2_2_4_2_2_2_wgs_208_tpt_208_halfLds_dp_op_CI_CI_unitstride_sbrr_C2R_dirReg: ; @fft_rtc_back_len1664_factors_13_2_2_4_2_2_2_wgs_208_tpt_208_halfLds_dp_op_CI_CI_unitstride_sbrr_C2R_dirReg
; %bb.0:
	s_clause 0x2
	s_load_dwordx4 s[12:15], s[4:5], 0x0
	s_load_dwordx4 s[8:11], s[4:5], 0x58
	;; [unrolled: 1-line block ×3, first 2 shown]
	v_mul_u32_u24_e32 v1, 0x13c, v0
	v_mov_b32_e32 v3, 0
	v_add_nc_u32_sdwa v5, s6, v1 dst_sel:DWORD dst_unused:UNUSED_PAD src0_sel:DWORD src1_sel:WORD_1
	v_mov_b32_e32 v1, 0
	v_mov_b32_e32 v6, v3
	v_mov_b32_e32 v2, 0
	s_waitcnt lgkmcnt(0)
	v_cmp_lt_u64_e64 s0, s[14:15], 2
	s_and_b32 vcc_lo, exec_lo, s0
	s_cbranch_vccnz .LBB0_8
; %bb.1:
	s_load_dwordx2 s[0:1], s[4:5], 0x10
	v_mov_b32_e32 v1, 0
	v_mov_b32_e32 v2, 0
	s_add_u32 s2, s18, 8
	s_addc_u32 s3, s19, 0
	s_add_u32 s6, s16, 8
	s_addc_u32 s7, s17, 0
	v_mov_b32_e32 v53, v2
	v_mov_b32_e32 v52, v1
	s_mov_b64 s[22:23], 1
	s_waitcnt lgkmcnt(0)
	s_add_u32 s20, s0, 8
	s_addc_u32 s21, s1, 0
.LBB0_2:                                ; =>This Inner Loop Header: Depth=1
	s_load_dwordx2 s[24:25], s[20:21], 0x0
                                        ; implicit-def: $vgpr54_vgpr55
	s_mov_b32 s0, exec_lo
	s_waitcnt lgkmcnt(0)
	v_or_b32_e32 v4, s25, v6
	v_cmpx_ne_u64_e32 0, v[3:4]
	s_xor_b32 s1, exec_lo, s0
	s_cbranch_execz .LBB0_4
; %bb.3:                                ;   in Loop: Header=BB0_2 Depth=1
	v_cvt_f32_u32_e32 v4, s24
	v_cvt_f32_u32_e32 v7, s25
	s_sub_u32 s0, 0, s24
	s_subb_u32 s26, 0, s25
	v_fmac_f32_e32 v4, 0x4f800000, v7
	v_rcp_f32_e32 v4, v4
	v_mul_f32_e32 v4, 0x5f7ffffc, v4
	v_mul_f32_e32 v7, 0x2f800000, v4
	v_trunc_f32_e32 v7, v7
	v_fmac_f32_e32 v4, 0xcf800000, v7
	v_cvt_u32_f32_e32 v7, v7
	v_cvt_u32_f32_e32 v4, v4
	v_mul_lo_u32 v8, s0, v7
	v_mul_hi_u32 v9, s0, v4
	v_mul_lo_u32 v10, s26, v4
	v_add_nc_u32_e32 v8, v9, v8
	v_mul_lo_u32 v9, s0, v4
	v_add_nc_u32_e32 v8, v8, v10
	v_mul_hi_u32 v10, v4, v9
	v_mul_lo_u32 v11, v4, v8
	v_mul_hi_u32 v12, v4, v8
	v_mul_hi_u32 v13, v7, v9
	v_mul_lo_u32 v9, v7, v9
	v_mul_hi_u32 v14, v7, v8
	v_mul_lo_u32 v8, v7, v8
	v_add_co_u32 v10, vcc_lo, v10, v11
	v_add_co_ci_u32_e32 v11, vcc_lo, 0, v12, vcc_lo
	v_add_co_u32 v9, vcc_lo, v10, v9
	v_add_co_ci_u32_e32 v9, vcc_lo, v11, v13, vcc_lo
	v_add_co_ci_u32_e32 v10, vcc_lo, 0, v14, vcc_lo
	v_add_co_u32 v8, vcc_lo, v9, v8
	v_add_co_ci_u32_e32 v9, vcc_lo, 0, v10, vcc_lo
	v_add_co_u32 v4, vcc_lo, v4, v8
	v_add_co_ci_u32_e32 v7, vcc_lo, v7, v9, vcc_lo
	v_mul_hi_u32 v8, s0, v4
	v_mul_lo_u32 v10, s26, v4
	v_mul_lo_u32 v9, s0, v7
	v_add_nc_u32_e32 v8, v8, v9
	v_mul_lo_u32 v9, s0, v4
	v_add_nc_u32_e32 v8, v8, v10
	v_mul_hi_u32 v10, v4, v9
	v_mul_lo_u32 v11, v4, v8
	v_mul_hi_u32 v12, v4, v8
	v_mul_hi_u32 v13, v7, v9
	v_mul_lo_u32 v9, v7, v9
	v_mul_hi_u32 v14, v7, v8
	v_mul_lo_u32 v8, v7, v8
	v_add_co_u32 v10, vcc_lo, v10, v11
	v_add_co_ci_u32_e32 v11, vcc_lo, 0, v12, vcc_lo
	v_add_co_u32 v9, vcc_lo, v10, v9
	v_add_co_ci_u32_e32 v9, vcc_lo, v11, v13, vcc_lo
	v_add_co_ci_u32_e32 v10, vcc_lo, 0, v14, vcc_lo
	v_add_co_u32 v8, vcc_lo, v9, v8
	v_add_co_ci_u32_e32 v9, vcc_lo, 0, v10, vcc_lo
	v_add_co_u32 v4, vcc_lo, v4, v8
	v_add_co_ci_u32_e32 v11, vcc_lo, v7, v9, vcc_lo
	v_mul_hi_u32 v13, v5, v4
	v_mad_u64_u32 v[9:10], null, v6, v4, 0
	v_mad_u64_u32 v[7:8], null, v5, v11, 0
	;; [unrolled: 1-line block ×3, first 2 shown]
	v_add_co_u32 v4, vcc_lo, v13, v7
	v_add_co_ci_u32_e32 v7, vcc_lo, 0, v8, vcc_lo
	v_add_co_u32 v4, vcc_lo, v4, v9
	v_add_co_ci_u32_e32 v4, vcc_lo, v7, v10, vcc_lo
	v_add_co_ci_u32_e32 v7, vcc_lo, 0, v12, vcc_lo
	v_add_co_u32 v4, vcc_lo, v4, v11
	v_add_co_ci_u32_e32 v9, vcc_lo, 0, v7, vcc_lo
	v_mul_lo_u32 v10, s25, v4
	v_mad_u64_u32 v[7:8], null, s24, v4, 0
	v_mul_lo_u32 v11, s24, v9
	v_sub_co_u32 v7, vcc_lo, v5, v7
	v_add3_u32 v8, v8, v11, v10
	v_sub_nc_u32_e32 v10, v6, v8
	v_subrev_co_ci_u32_e64 v10, s0, s25, v10, vcc_lo
	v_add_co_u32 v11, s0, v4, 2
	v_add_co_ci_u32_e64 v12, s0, 0, v9, s0
	v_sub_co_u32 v13, s0, v7, s24
	v_sub_co_ci_u32_e32 v8, vcc_lo, v6, v8, vcc_lo
	v_subrev_co_ci_u32_e64 v10, s0, 0, v10, s0
	v_cmp_le_u32_e32 vcc_lo, s24, v13
	v_cmp_eq_u32_e64 s0, s25, v8
	v_cndmask_b32_e64 v13, 0, -1, vcc_lo
	v_cmp_le_u32_e32 vcc_lo, s25, v10
	v_cndmask_b32_e64 v14, 0, -1, vcc_lo
	v_cmp_le_u32_e32 vcc_lo, s24, v7
	;; [unrolled: 2-line block ×3, first 2 shown]
	v_cndmask_b32_e64 v15, 0, -1, vcc_lo
	v_cmp_eq_u32_e32 vcc_lo, s25, v10
	v_cndmask_b32_e64 v7, v15, v7, s0
	v_cndmask_b32_e32 v10, v14, v13, vcc_lo
	v_add_co_u32 v13, vcc_lo, v4, 1
	v_add_co_ci_u32_e32 v14, vcc_lo, 0, v9, vcc_lo
	v_cmp_ne_u32_e32 vcc_lo, 0, v10
	v_cndmask_b32_e32 v8, v14, v12, vcc_lo
	v_cndmask_b32_e32 v10, v13, v11, vcc_lo
	v_cmp_ne_u32_e32 vcc_lo, 0, v7
	v_cndmask_b32_e32 v55, v9, v8, vcc_lo
	v_cndmask_b32_e32 v54, v4, v10, vcc_lo
.LBB0_4:                                ;   in Loop: Header=BB0_2 Depth=1
	s_andn2_saveexec_b32 s0, s1
	s_cbranch_execz .LBB0_6
; %bb.5:                                ;   in Loop: Header=BB0_2 Depth=1
	v_cvt_f32_u32_e32 v4, s24
	s_sub_i32 s1, 0, s24
	v_mov_b32_e32 v55, v3
	v_rcp_iflag_f32_e32 v4, v4
	v_mul_f32_e32 v4, 0x4f7ffffe, v4
	v_cvt_u32_f32_e32 v4, v4
	v_mul_lo_u32 v7, s1, v4
	v_mul_hi_u32 v7, v4, v7
	v_add_nc_u32_e32 v4, v4, v7
	v_mul_hi_u32 v4, v5, v4
	v_mul_lo_u32 v7, v4, s24
	v_add_nc_u32_e32 v8, 1, v4
	v_sub_nc_u32_e32 v7, v5, v7
	v_subrev_nc_u32_e32 v9, s24, v7
	v_cmp_le_u32_e32 vcc_lo, s24, v7
	v_cndmask_b32_e32 v7, v7, v9, vcc_lo
	v_cndmask_b32_e32 v4, v4, v8, vcc_lo
	v_cmp_le_u32_e32 vcc_lo, s24, v7
	v_add_nc_u32_e32 v8, 1, v4
	v_cndmask_b32_e32 v54, v4, v8, vcc_lo
.LBB0_6:                                ;   in Loop: Header=BB0_2 Depth=1
	s_or_b32 exec_lo, exec_lo, s0
	v_mul_lo_u32 v4, v55, s24
	v_mul_lo_u32 v9, v54, s25
	s_load_dwordx2 s[0:1], s[6:7], 0x0
	v_mad_u64_u32 v[7:8], null, v54, s24, 0
	s_load_dwordx2 s[24:25], s[2:3], 0x0
	s_add_u32 s22, s22, 1
	s_addc_u32 s23, s23, 0
	s_add_u32 s2, s2, 8
	s_addc_u32 s3, s3, 0
	s_add_u32 s6, s6, 8
	v_add3_u32 v4, v8, v9, v4
	v_sub_co_u32 v5, vcc_lo, v5, v7
	s_addc_u32 s7, s7, 0
	s_add_u32 s20, s20, 8
	v_sub_co_ci_u32_e32 v4, vcc_lo, v6, v4, vcc_lo
	s_addc_u32 s21, s21, 0
	s_waitcnt lgkmcnt(0)
	v_mul_lo_u32 v6, s0, v4
	v_mul_lo_u32 v7, s1, v5
	v_mad_u64_u32 v[1:2], null, s0, v5, v[1:2]
	v_mul_lo_u32 v4, s24, v4
	v_mul_lo_u32 v8, s25, v5
	v_mad_u64_u32 v[52:53], null, s24, v5, v[52:53]
	v_cmp_ge_u64_e64 s0, s[22:23], s[14:15]
	v_add3_u32 v2, v7, v2, v6
	v_add3_u32 v53, v8, v53, v4
	s_and_b32 vcc_lo, exec_lo, s0
	s_cbranch_vccnz .LBB0_9
; %bb.7:                                ;   in Loop: Header=BB0_2 Depth=1
	v_mov_b32_e32 v5, v54
	v_mov_b32_e32 v6, v55
	s_branch .LBB0_2
.LBB0_8:
	v_mov_b32_e32 v53, v2
	v_mov_b32_e32 v55, v6
	;; [unrolled: 1-line block ×4, first 2 shown]
.LBB0_9:
	s_load_dwordx2 s[0:1], s[4:5], 0x28
	v_mul_hi_u32 v3, 0x13b13b2, v0
	s_lshl_b64 s[4:5], s[14:15], 3
                                        ; implicit-def: $vgpr56
                                        ; implicit-def: $vgpr4_vgpr5
	s_add_u32 s2, s18, s4
	s_addc_u32 s3, s19, s5
	s_waitcnt lgkmcnt(0)
	v_cmp_gt_u64_e32 vcc_lo, s[0:1], v[54:55]
	v_cmp_le_u64_e64 s0, s[0:1], v[54:55]
	s_and_saveexec_b32 s1, s0
	s_xor_b32 s0, exec_lo, s1
; %bb.10:
	v_mul_u32_u24_e32 v1, 0xd0, v3
	v_mov_b32_e32 v57, 0
                                        ; implicit-def: $vgpr3
	v_sub_nc_u32_e32 v56, v0, v1
                                        ; implicit-def: $vgpr0
                                        ; implicit-def: $vgpr1_vgpr2
	v_mov_b32_e32 v4, v56
	v_mov_b32_e32 v5, v57
; %bb.11:
	s_or_saveexec_b32 s1, s0
	s_load_dwordx2 s[2:3], s[2:3], 0x0
	s_xor_b32 exec_lo, exec_lo, s1
	s_cbranch_execz .LBB0_15
; %bb.12:
	s_add_u32 s4, s16, s4
	s_addc_u32 s5, s17, s5
	v_lshlrev_b64 v[1:2], 4, v[1:2]
	s_load_dwordx2 s[4:5], s[4:5], 0x0
	v_mov_b32_e32 v57, 0
	s_waitcnt lgkmcnt(0)
	v_mul_lo_u32 v6, s5, v54
	v_mul_lo_u32 v7, s4, v55
	v_mad_u64_u32 v[4:5], null, s4, v54, 0
	s_mov_b32 s4, exec_lo
	v_add3_u32 v5, v5, v7, v6
	v_mul_u32_u24_e32 v6, 0xd0, v3
	v_lshlrev_b64 v[3:4], 4, v[4:5]
	v_sub_nc_u32_e32 v56, v0, v6
	v_lshlrev_b32_e32 v38, 4, v56
	v_add_co_u32 v0, s0, s8, v3
	v_add_co_ci_u32_e64 v3, s0, s9, v4, s0
	v_add_co_u32 v0, s0, v0, v1
	v_add_co_ci_u32_e64 v1, s0, v3, v2, s0
	v_add_co_u32 v2, s0, v0, v38
	v_add_co_ci_u32_e64 v3, s0, 0, v1, s0
	v_add_co_u32 v4, s0, 0x800, v2
	v_add_co_ci_u32_e64 v5, s0, 0, v3, s0
	v_add_co_u32 v14, s0, 0x1800, v2
	v_add_co_ci_u32_e64 v15, s0, 0, v3, s0
	v_add_co_u32 v18, s0, 0x2000, v2
	v_add_co_ci_u32_e64 v19, s0, 0, v3, s0
	v_add_co_u32 v22, s0, 0x3000, v2
	v_add_co_ci_u32_e64 v23, s0, 0, v3, s0
	v_add_co_u32 v26, s0, 0x4000, v2
	v_add_co_ci_u32_e64 v27, s0, 0, v3, s0
	v_add_co_u32 v30, s0, 0x4800, v2
	v_add_co_ci_u32_e64 v31, s0, 0, v3, s0
	v_add_co_u32 v34, s0, 0x5800, v2
	v_add_co_ci_u32_e64 v35, s0, 0, v3, s0
	s_clause 0x7
	global_load_dwordx4 v[6:9], v[2:3], off
	global_load_dwordx4 v[10:13], v[4:5], off offset:1280
	global_load_dwordx4 v[14:17], v[14:15], off offset:512
	;; [unrolled: 1-line block ×7, first 2 shown]
	v_mov_b32_e32 v4, v56
	v_add_nc_u32_e32 v2, 0, v38
	v_mov_b32_e32 v5, v57
	s_waitcnt vmcnt(7)
	ds_write_b128 v2, v[6:9]
	s_waitcnt vmcnt(6)
	ds_write_b128 v2, v[10:13] offset:3328
	s_waitcnt vmcnt(5)
	ds_write_b128 v2, v[14:17] offset:6656
	;; [unrolled: 2-line block ×7, first 2 shown]
	v_cmpx_eq_u32_e32 0xcf, v56
	s_cbranch_execz .LBB0_14
; %bb.13:
	v_add_co_u32 v0, s0, 0x6800, v0
	v_add_co_ci_u32_e64 v1, s0, 0, v1, s0
	v_mov_b32_e32 v4, 0xcf
	v_mov_b32_e32 v5, 0
	;; [unrolled: 1-line block ×3, first 2 shown]
	global_load_dwordx4 v[0:3], v[0:1], off
	s_waitcnt vmcnt(0)
	ds_write_b128 v57, v[0:3] offset:26624
.LBB0_14:
	s_or_b32 exec_lo, exec_lo, s4
.LBB0_15:
	s_or_b32 exec_lo, exec_lo, s1
	v_lshlrev_b32_e32 v0, 4, v56
	s_waitcnt lgkmcnt(0)
	s_barrier
	buffer_gl0_inv
	v_lshlrev_b64 v[63:64], 4, v[4:5]
	v_add_nc_u32_e32 v113, 0, v0
	v_sub_nc_u32_e32 v10, 0, v0
	s_add_u32 s1, s12, 0x6730
	s_addc_u32 s4, s13, 0
	s_mov_b32 s5, exec_lo
	ds_read_b64 v[6:7], v113
	ds_read_b64 v[8:9], v10 offset:26624
	s_waitcnt lgkmcnt(0)
	v_add_f64 v[0:1], v[6:7], v[8:9]
	v_add_f64 v[2:3], v[6:7], -v[8:9]
	v_cmpx_ne_u32_e32 0, v56
	s_xor_b32 s5, exec_lo, s5
	s_cbranch_execz .LBB0_17
; %bb.16:
	v_add_co_u32 v0, s0, s1, v63
	v_add_co_ci_u32_e64 v1, s0, s4, v64, s0
	v_add_f64 v[13:14], v[6:7], v[8:9]
	v_add_f64 v[8:9], v[6:7], -v[8:9]
	global_load_dwordx4 v[2:5], v[0:1], off
	ds_read_b64 v[0:1], v10 offset:26632
	ds_read_b64 v[11:12], v113 offset:8
	s_waitcnt lgkmcnt(0)
	v_add_f64 v[6:7], v[0:1], v[11:12]
	v_add_f64 v[0:1], v[11:12], -v[0:1]
	s_waitcnt vmcnt(0)
	v_fma_f64 v[11:12], v[8:9], v[4:5], v[13:14]
	v_fma_f64 v[13:14], -v[8:9], v[4:5], v[13:14]
	v_fma_f64 v[15:16], v[6:7], v[4:5], -v[0:1]
	v_fma_f64 v[17:18], v[6:7], v[4:5], v[0:1]
	v_fma_f64 v[0:1], -v[6:7], v[2:3], v[11:12]
	v_fma_f64 v[4:5], v[6:7], v[2:3], v[13:14]
	v_fma_f64 v[6:7], v[8:9], v[2:3], v[15:16]
	;; [unrolled: 1-line block ×3, first 2 shown]
	ds_write_b128 v10, v[4:7] offset:26624
.LBB0_17:
	s_andn2_saveexec_b32 s0, s5
	s_cbranch_execz .LBB0_19
; %bb.18:
	v_mov_b32_e32 v8, 0
	ds_read_b128 v[4:7], v8 offset:13312
	s_waitcnt lgkmcnt(0)
	v_add_f64 v[4:5], v[4:5], v[4:5]
	v_mul_f64 v[6:7], v[6:7], -2.0
	ds_write_b128 v8, v[4:7] offset:13312
.LBB0_19:
	s_or_b32 exec_lo, exec_lo, s0
	v_add_nc_u32_e32 v68, 0xd0, v56
	v_mov_b32_e32 v69, 0
	v_add_nc_u32_e32 v65, 0x1a0, v56
	ds_write_b128 v113, v[0:3]
	s_mov_b32 s33, exec_lo
	v_lshlrev_b64 v[61:62], 4, v[68:69]
	v_mov_b32_e32 v66, v69
	v_mov_b32_e32 v67, v69
	v_lshlrev_b64 v[57:58], 4, v[65:66]
	v_add_co_u32 v4, s0, s1, v61
	v_add_co_ci_u32_e64 v5, s0, s4, v62, s0
	v_add_nc_u32_e32 v66, 0x270, v56
	v_add_co_u32 v8, s0, s1, v57
	global_load_dwordx4 v[4:7], v[4:5], off
	v_add_co_ci_u32_e64 v9, s0, s4, v58, s0
	v_lshlrev_b64 v[59:60], 4, v[66:67]
	global_load_dwordx4 v[11:14], v[8:9], off
	v_add_co_u32 v8, s0, s1, v59
	v_add_co_ci_u32_e64 v9, s0, s4, v60, s0
	global_load_dwordx4 v[15:18], v[8:9], off
	ds_read_b128 v[0:3], v113 offset:3328
	ds_read_b128 v[19:22], v10 offset:23296
	s_waitcnt lgkmcnt(0)
	v_add_f64 v[8:9], v[0:1], v[19:20]
	v_add_f64 v[23:24], v[21:22], v[2:3]
	v_add_f64 v[19:20], v[0:1], -v[19:20]
	v_add_f64 v[0:1], v[2:3], -v[21:22]
	s_waitcnt vmcnt(2)
	v_fma_f64 v[2:3], v[19:20], v[6:7], v[8:9]
	v_fma_f64 v[21:22], v[23:24], v[6:7], v[0:1]
	v_fma_f64 v[8:9], -v[19:20], v[6:7], v[8:9]
	v_fma_f64 v[25:26], v[23:24], v[6:7], -v[0:1]
	v_fma_f64 v[0:1], -v[23:24], v[4:5], v[2:3]
	v_fma_f64 v[2:3], v[19:20], v[4:5], v[21:22]
	v_fma_f64 v[6:7], v[23:24], v[4:5], v[8:9]
	v_fma_f64 v[8:9], v[19:20], v[4:5], v[25:26]
	ds_write_b128 v113, v[0:3] offset:3328
	ds_write_b128 v10, v[6:9] offset:23296
	ds_read_b128 v[0:3], v113 offset:6656
	ds_read_b128 v[4:7], v10 offset:19968
	s_waitcnt lgkmcnt(0)
	v_add_f64 v[8:9], v[0:1], v[4:5]
	v_add_f64 v[19:20], v[6:7], v[2:3]
	v_add_f64 v[21:22], v[0:1], -v[4:5]
	v_add_f64 v[0:1], v[2:3], -v[6:7]
	s_waitcnt vmcnt(1)
	v_fma_f64 v[2:3], v[21:22], v[13:14], v[8:9]
	v_fma_f64 v[4:5], v[19:20], v[13:14], v[0:1]
	v_fma_f64 v[6:7], -v[21:22], v[13:14], v[8:9]
	v_fma_f64 v[8:9], v[19:20], v[13:14], -v[0:1]
	v_fma_f64 v[0:1], -v[19:20], v[11:12], v[2:3]
	v_fma_f64 v[2:3], v[21:22], v[11:12], v[4:5]
	v_fma_f64 v[4:5], v[19:20], v[11:12], v[6:7]
	v_fma_f64 v[6:7], v[21:22], v[11:12], v[8:9]
	ds_write_b128 v113, v[0:3] offset:6656
	ds_write_b128 v10, v[4:7] offset:19968
	;; [unrolled: 18-line block ×3, first 2 shown]
	s_waitcnt lgkmcnt(0)
	s_barrier
	buffer_gl0_inv
	s_barrier
	buffer_gl0_inv
	ds_read_b128 v[0:3], v113
	ds_read_b128 v[48:51], v113 offset:2048
	ds_read_b128 v[44:47], v113 offset:4096
	ds_read_b128 v[40:43], v113 offset:6144
	ds_read_b128 v[36:39], v113 offset:8192
	ds_read_b128 v[32:35], v113 offset:10240
	ds_read_b128 v[28:31], v113 offset:12288
	ds_read_b128 v[24:27], v113 offset:14336
	ds_read_b128 v[20:23], v113 offset:16384
	ds_read_b128 v[16:19], v113 offset:18432
	ds_read_b128 v[12:15], v113 offset:20480
	ds_read_b128 v[8:11], v113 offset:22528
	ds_read_b128 v[4:7], v113 offset:24576
	s_waitcnt lgkmcnt(0)
	s_barrier
	buffer_gl0_inv
	v_cmpx_gt_u32_e32 0x80, v56
	s_cbranch_execz .LBB0_21
; %bb.20:
	v_add_f64 v[69:70], v[2:3], v[50:51]
	v_add_f64 v[71:72], v[0:1], v[48:49]
	v_add_f64 v[93:94], v[46:47], -v[10:11]
	v_add_f64 v[79:80], v[46:47], v[10:11]
	v_add_f64 v[103:104], v[48:49], -v[4:5]
	s_mov_b32 s6, 0x4bc48dbf
	s_mov_b32 s7, 0xbfcea1e5
	v_add_f64 v[95:96], v[44:45], -v[8:9]
	v_add_f64 v[91:92], v[50:51], v[6:7]
	v_add_f64 v[99:100], v[50:51], -v[6:7]
	v_add_f64 v[89:90], v[48:49], v[4:5]
	;; [unrolled: 2-line block ×3, first 2 shown]
	s_mov_b32 s0, 0x93053d00
	s_mov_b32 s35, 0x3fddbe06
	;; [unrolled: 1-line block ×4, first 2 shown]
	v_add_f64 v[101:102], v[40:41], -v[12:13]
	s_mov_b32 s18, 0x24c2f84
	s_mov_b32 s4, 0xe00740e9
	;; [unrolled: 1-line block ×4, first 2 shown]
	v_add_f64 v[46:47], v[69:70], v[46:47]
	v_add_f64 v[69:70], v[71:72], v[44:45]
	;; [unrolled: 1-line block ×3, first 2 shown]
	v_add_f64 v[97:98], v[42:43], -v[14:15]
	v_mul_f64 v[111:112], v[103:104], s[6:7]
	v_mul_f64 v[132:133], v[103:104], s[18:19]
	v_add_f64 v[77:78], v[44:45], v[8:9]
	v_mul_f64 v[116:117], v[95:96], s[34:35]
	v_mul_f64 v[118:119], v[93:94], s[34:35]
	;; [unrolled: 1-line block ×3, first 2 shown]
	s_mov_b32 s24, 0x66966769
	s_mov_b32 s25, 0x3fefc445
	;; [unrolled: 1-line block ×5, first 2 shown]
	v_mul_f64 v[150:151], v[103:104], s[30:31]
	s_mov_b32 s8, 0xd0032e0c
	v_mul_f64 v[120:121], v[101:102], s[18:19]
	s_mov_b32 s17, 0x3fea55e2
	s_mov_b32 s9, 0xbfe7f3cc
	v_add_f64 v[83:84], v[32:33], -v[20:21]
	v_add_f64 v[71:72], v[38:39], v[18:19]
	v_add_f64 v[105:106], v[46:47], v[42:43]
	;; [unrolled: 1-line block ×3, first 2 shown]
	v_mul_f64 v[124:125], v[87:88], s[16:17]
	v_mul_f64 v[134:135], v[99:100], s[18:19]
	v_fma_f64 v[136:137], v[91:92], s[0:1], v[111:112]
	v_mul_f64 v[138:139], v[95:96], s[24:25]
	v_fma_f64 v[184:185], v[91:92], s[8:9], v[132:133]
	v_fma_f64 v[170:171], v[79:80], s[4:5], v[116:117]
	v_add_f64 v[85:86], v[38:39], -v[18:19]
	v_fma_f64 v[140:141], v[89:90], s[0:1], -v[114:115]
	v_fma_f64 v[114:115], v[89:90], s[0:1], v[114:115]
	v_add_f64 v[50:51], v[40:41], v[12:13]
	v_mul_f64 v[122:123], v[97:98], s[18:19]
	v_fma_f64 v[172:173], v[77:78], s[4:5], -v[118:119]
	v_fma_f64 v[176:177], v[91:92], s[0:1], -v[111:112]
	s_mov_b32 s22, 0xebaa3ed8
	s_mov_b32 s23, 0x3fbedb7d
	v_fma_f64 v[192:193], v[75:76], s[8:9], v[120:121]
	v_add_f64 v[73:74], v[28:29], -v[24:25]
	v_add_f64 v[44:45], v[30:31], v[26:27]
	v_add_f64 v[40:41], v[28:29], v[24:25]
	v_add_f64 v[69:70], v[30:31], -v[26:27]
	v_add_f64 v[109:110], v[105:106], v[38:39]
	v_add_f64 v[36:37], v[107:108], v[36:37]
	v_mul_f64 v[152:153], v[99:100], s[30:31]
	v_mul_f64 v[164:165], v[95:96], s[6:7]
	v_add_f64 v[136:137], v[2:3], v[136:137]
	v_fma_f64 v[118:119], v[77:78], s[4:5], v[118:119]
	v_fma_f64 v[194:195], v[91:92], s[22:23], -v[150:151]
	s_mov_b32 s14, 0x1ea71119
	s_mov_b32 s28, 0x2ef20147
	v_add_f64 v[140:141], v[0:1], v[140:141]
	v_add_f64 v[114:115], v[0:1], v[114:115]
	s_mov_b32 s15, 0x3fe22d96
	s_mov_b32 s29, 0xbfedeba7
	;; [unrolled: 1-line block ×4, first 2 shown]
	v_add_f64 v[42:43], v[34:35], v[22:23]
	v_mul_f64 v[128:129], v[83:84], s[28:29]
	v_mul_f64 v[142:143], v[93:94], s[24:25]
	v_mul_f64 v[148:149], v[101:102], s[36:37]
	v_fma_f64 v[188:189], v[89:90], s[8:9], -v[134:135]
	v_fma_f64 v[134:135], v[89:90], s[8:9], v[134:135]
	v_fma_f64 v[196:197], v[79:80], s[22:23], v[138:139]
	v_add_f64 v[144:145], v[109:110], v[34:35]
	v_add_f64 v[146:147], v[36:37], v[32:33]
	;; [unrolled: 1-line block ×3, first 2 shown]
	v_mul_f64 v[126:127], v[85:86], s[16:17]
	v_add_f64 v[136:137], v[170:171], v[136:137]
	v_fma_f64 v[132:133], v[91:92], s[8:9], -v[132:133]
	v_fma_f64 v[170:171], v[50:51], s[8:9], -v[122:123]
	;; [unrolled: 1-line block ×3, first 2 shown]
	s_mov_b32 s39, 0x3fedeba7
	v_add_f64 v[140:141], v[172:173], v[140:141]
	s_mov_b32 s38, s28
	v_add_f64 v[81:82], v[34:35], -v[22:23]
	v_add_f64 v[46:47], v[32:33], v[20:21]
	v_mul_f64 v[166:167], v[93:94], s[6:7]
	v_mul_f64 v[34:35], v[101:102], s[38:39]
	v_fma_f64 v[198:199], v[89:90], s[22:23], v[152:153]
	v_add_f64 v[114:115], v[118:119], v[114:115]
	v_fma_f64 v[118:119], v[79:80], s[0:1], -v[164:165]
	v_add_f64 v[194:195], v[2:3], v[194:195]
	s_mov_b32 s20, 0xb2365da1
	s_mov_b32 s21, 0xbfd6b1d8
	;; [unrolled: 1-line block ×3, first 2 shown]
	v_add_f64 v[144:145], v[144:145], v[30:31]
	v_add_f64 v[146:147], v[146:147], v[28:29]
	s_mov_b32 s26, s6
	v_mul_f64 v[105:106], v[73:74], s[24:25]
	v_add_f64 v[136:137], v[192:193], v[136:137]
	v_fma_f64 v[192:193], v[71:72], s[14:15], v[124:125]
	v_mul_f64 v[156:157], v[87:88], s[26:27]
	v_mul_f64 v[168:169], v[103:104], s[36:37]
	v_fma_f64 v[200:201], v[77:78], s[22:23], -v[142:143]
	v_add_f64 v[188:189], v[0:1], v[188:189]
	v_fma_f64 v[142:143], v[77:78], s[22:23], v[142:143]
	v_add_f64 v[134:135], v[0:1], v[134:135]
	v_add_f64 v[184:185], v[196:197], v[184:185]
	v_fma_f64 v[122:123], v[50:51], s[8:9], v[122:123]
	v_mul_f64 v[154:155], v[97:98], s[36:37]
	v_fma_f64 v[138:139], v[79:80], s[22:23], -v[138:139]
	v_add_f64 v[132:133], v[2:3], v[132:133]
	v_add_f64 v[140:141], v[170:171], v[140:141]
	v_fma_f64 v[170:171], v[48:49], s[14:15], -v[126:127]
	v_fma_f64 v[120:121], v[75:76], s[8:9], -v[120:121]
	v_mul_f64 v[130:131], v[81:82], s[28:29]
	v_mul_f64 v[158:159], v[85:86], s[26:27]
	v_add_f64 v[26:27], v[144:145], v[26:27]
	v_add_f64 v[24:25], v[146:147], v[24:25]
	;; [unrolled: 1-line block ×3, first 2 shown]
	v_mul_f64 v[107:108], v[97:98], s[38:39]
	v_mul_f64 v[32:33], v[87:88], s[34:35]
	v_add_f64 v[136:137], v[192:193], v[136:137]
	v_fma_f64 v[192:193], v[75:76], s[14:15], v[148:149]
	v_fma_f64 v[196:197], v[77:78], s[0:1], v[166:167]
	v_add_f64 v[198:199], v[0:1], v[198:199]
	v_add_f64 v[118:119], v[118:119], v[194:195]
	v_mul_f64 v[160:161], v[83:84], s[34:35]
	v_add_f64 v[188:189], v[200:201], v[188:189]
	v_fma_f64 v[200:201], v[44:45], s[22:23], v[105:106]
	v_add_f64 v[134:135], v[142:143], v[134:135]
	v_fma_f64 v[142:143], v[91:92], s[14:15], -v[168:169]
	v_fma_f64 v[126:127], v[48:49], s[14:15], v[126:127]
	v_fma_f64 v[194:195], v[71:72], s[0:1], v[156:157]
	v_add_f64 v[114:115], v[122:123], v[114:115]
	v_mul_f64 v[174:175], v[95:96], s[28:29]
	v_mul_f64 v[180:181], v[99:100], s[36:37]
	v_add_f64 v[132:133], v[138:139], v[132:133]
	v_add_f64 v[140:141], v[170:171], v[140:141]
	;; [unrolled: 1-line block ×4, first 2 shown]
	v_fma_f64 v[26:27], v[42:43], s[20:21], v[128:129]
	v_add_f64 v[116:117], v[116:117], v[146:147]
	v_fma_f64 v[170:171], v[50:51], s[14:15], -v[154:155]
	v_fma_f64 v[148:149], v[75:76], s[14:15], -v[148:149]
	v_add_f64 v[184:185], v[192:193], v[184:185]
	v_fma_f64 v[154:155], v[50:51], s[14:15], v[154:155]
	v_fma_f64 v[124:125], v[71:72], s[14:15], -v[124:125]
	v_mul_f64 v[162:163], v[81:82], s[34:35]
	v_mul_f64 v[109:110], v[85:86], s[34:35]
	;; [unrolled: 1-line block ×6, first 2 shown]
	s_mov_b32 s35, 0xbfddbe06
	v_mul_f64 v[38:39], v[69:70], s[24:25]
	v_mul_f64 v[36:37], v[83:84], s[36:37]
	;; [unrolled: 1-line block ×5, first 2 shown]
	v_fma_f64 v[146:147], v[46:47], s[20:21], -v[130:131]
	v_add_f64 v[18:19], v[22:23], v[18:19]
	v_add_f64 v[16:17], v[20:21], v[16:17]
	v_fma_f64 v[20:21], v[75:76], s[20:21], -v[34:35]
	v_add_f64 v[26:27], v[26:27], v[136:137]
	v_add_f64 v[116:117], v[120:121], v[116:117]
	v_fma_f64 v[22:23], v[50:51], s[20:21], v[107:108]
	v_add_f64 v[196:197], v[196:197], v[198:199]
	v_fma_f64 v[198:199], v[48:49], s[0:1], -v[158:159]
	v_fma_f64 v[120:121], v[71:72], s[0:1], -v[156:157]
	v_fma_f64 v[156:157], v[48:49], s[0:1], v[158:159]
	v_fma_f64 v[158:159], v[71:72], s[4:5], -v[32:33]
	v_add_f64 v[114:115], v[126:127], v[114:115]
	v_add_f64 v[126:127], v[194:195], v[184:185]
	v_mul_f64 v[190:191], v[93:94], s[28:29]
	v_fma_f64 v[122:123], v[79:80], s[20:21], -v[174:175]
	v_add_f64 v[132:133], v[148:149], v[132:133]
	v_add_f64 v[134:135], v[154:155], v[134:135]
	v_fma_f64 v[128:129], v[42:43], s[20:21], -v[128:129]
	v_fma_f64 v[148:149], v[89:90], s[14:15], v[180:181]
	v_mul_f64 v[178:179], v[101:102], s[6:7]
	v_mul_f64 v[176:177], v[93:94], s[36:37]
	v_fma_f64 v[138:139], v[40:41], s[22:23], -v[38:39]
	v_add_f64 v[18:19], v[18:19], v[14:15]
	v_add_f64 v[16:17], v[16:17], v[12:13]
	;; [unrolled: 1-line block ×3, first 2 shown]
	v_fma_f64 v[118:119], v[46:47], s[20:21], v[130:131]
	v_add_f64 v[130:131], v[2:3], v[142:143]
	v_fma_f64 v[142:143], v[42:43], s[4:5], v[160:161]
	v_add_f64 v[14:15], v[200:201], v[26:27]
	v_mul_f64 v[26:27], v[99:100], s[28:29]
	v_add_f64 v[116:117], v[124:125], v[116:117]
	v_add_f64 v[136:137], v[146:147], v[140:141]
	v_fma_f64 v[140:141], v[48:49], s[4:5], v[109:110]
	v_add_f64 v[22:23], v[22:23], v[196:197]
	v_fma_f64 v[124:125], v[42:43], s[4:5], -v[160:161]
	v_fma_f64 v[154:155], v[91:92], s[4:5], -v[103:104]
	v_fma_f64 v[160:161], v[89:90], s[4:5], v[24:25]
	v_fma_f64 v[99:100], v[42:43], s[14:15], -v[36:37]
	s_mov_b32 s35, 0x3fe5384d
	s_mov_b32 s34, s18
	v_mul_f64 v[28:29], v[81:82], s[36:37]
	v_mul_f64 v[93:94], v[93:94], s[34:35]
	;; [unrolled: 1-line block ×3, first 2 shown]
	v_add_f64 v[120:121], v[120:121], v[132:133]
	v_add_f64 v[10:11], v[18:19], v[10:11]
	v_add_f64 v[18:19], v[156:157], v[134:135]
	v_add_f64 v[20:21], v[158:159], v[20:21]
	v_add_f64 v[114:115], v[118:119], v[114:115]
	v_add_f64 v[122:123], v[122:123], v[130:131]
	v_add_f64 v[118:119], v[142:143], v[126:127]
	v_mul_f64 v[130:131], v[97:98], s[6:7]
	v_fma_f64 v[142:143], v[89:90], s[20:21], -v[26:27]
	v_add_f64 v[116:117], v[128:129], v[116:117]
	v_fma_f64 v[128:129], v[77:78], s[20:21], v[190:191]
	v_add_f64 v[132:133], v[0:1], v[148:149]
	v_fma_f64 v[134:135], v[91:92], s[20:21], v[172:173]
	v_mul_f64 v[95:96], v[95:96], s[34:35]
	v_add_f64 v[8:9], v[16:17], v[8:9]
	v_fma_f64 v[16:17], v[46:47], s[4:5], v[162:163]
	v_add_f64 v[12:13], v[138:139], v[136:137]
	v_add_f64 v[22:23], v[140:141], v[22:23]
	v_add_f64 v[136:137], v[2:3], v[154:155]
	v_add_f64 v[140:141], v[0:1], v[160:161]
	v_fma_f64 v[148:149], v[77:78], s[14:15], v[176:177]
	v_mul_f64 v[97:98], v[97:98], s[30:31]
	v_fma_f64 v[154:155], v[75:76], s[0:1], -v[178:179]
	v_add_f64 v[6:7], v[10:11], v[6:7]
	v_fma_f64 v[10:11], v[89:90], s[20:21], v[26:27]
	v_add_f64 v[20:21], v[99:100], v[20:21]
	v_mul_f64 v[99:100], v[87:88], s[34:35]
	v_fma_f64 v[126:127], v[46:47], s[14:15], v[28:29]
	v_add_f64 v[120:121], v[124:125], v[120:121]
	v_mul_f64 v[158:159], v[85:86], s[28:29]
	v_add_f64 v[26:27], v[0:1], v[142:143]
	v_fma_f64 v[142:143], v[77:78], s[8:9], -v[93:94]
	v_fma_f64 v[24:25], v[89:90], s[4:5], -v[24:25]
	v_add_f64 v[124:125], v[128:129], v[132:133]
	v_fma_f64 v[128:129], v[50:51], s[0:1], v[130:131]
	v_mul_f64 v[132:133], v[85:86], s[34:35]
	v_add_f64 v[134:135], v[2:3], v[134:135]
	v_fma_f64 v[160:161], v[79:80], s[8:9], v[95:96]
	v_add_f64 v[16:17], v[16:17], v[18:19]
	v_fma_f64 v[18:19], v[91:92], s[20:21], -v[172:173]
	v_add_f64 v[4:5], v[8:9], v[4:5]
	v_fma_f64 v[8:9], v[91:92], s[22:23], v[150:151]
	v_add_f64 v[140:141], v[148:149], v[140:141]
	v_fma_f64 v[148:149], v[50:51], s[22:23], v[97:98]
	v_fma_f64 v[150:151], v[89:90], s[22:23], -v[152:153]
	v_fma_f64 v[152:153], v[91:92], s[14:15], v[168:169]
	v_fma_f64 v[91:92], v[91:92], s[4:5], v[103:104]
	v_fma_f64 v[103:104], v[89:90], s[14:15], -v[180:181]
	v_add_f64 v[89:90], v[154:155], v[122:123]
	v_fma_f64 v[122:123], v[71:72], s[8:9], -v[99:100]
	v_add_f64 v[10:11], v[0:1], v[10:11]
	v_fma_f64 v[93:94], v[77:78], s[8:9], v[93:94]
	v_add_f64 v[126:127], v[126:127], v[22:23]
	v_add_f64 v[22:23], v[142:143], v[26:27]
	v_fma_f64 v[26:27], v[50:51], s[4:5], -v[186:187]
	v_fma_f64 v[154:155], v[75:76], s[4:5], v[182:183]
	v_add_f64 v[124:125], v[128:129], v[124:125]
	v_fma_f64 v[128:129], v[48:49], s[8:9], v[132:133]
	v_fma_f64 v[138:139], v[79:80], s[14:15], -v[144:145]
	v_add_f64 v[134:135], v[160:161], v[134:135]
	v_mul_f64 v[101:102], v[101:102], s[30:31]
	v_add_f64 v[18:19], v[2:3], v[18:19]
	v_fma_f64 v[95:96], v[79:80], s[8:9], -v[95:96]
	v_add_f64 v[8:9], v[2:3], v[8:9]
	v_mul_f64 v[156:157], v[87:88], s[28:29]
	v_add_f64 v[140:141], v[148:149], v[140:141]
	v_fma_f64 v[148:149], v[48:49], s[20:21], v[158:159]
	v_add_f64 v[142:143], v[0:1], v[150:151]
	v_add_f64 v[150:151], v[2:3], v[152:153]
	;; [unrolled: 1-line block ×5, first 2 shown]
	v_fma_f64 v[122:123], v[79:80], s[0:1], v[164:165]
	v_add_f64 v[10:11], v[93:94], v[10:11]
	v_fma_f64 v[93:94], v[77:78], s[20:21], -v[190:191]
	v_add_f64 v[2:3], v[2:3], v[91:92]
	v_add_f64 v[22:23], v[26:27], v[22:23]
	v_fma_f64 v[26:27], v[79:80], s[20:21], v[174:175]
	v_fma_f64 v[79:80], v[79:80], s[14:15], v[144:145]
	v_add_f64 v[89:90], v[128:129], v[124:125]
	v_add_f64 v[136:137], v[138:139], v[136:137]
	v_add_f64 v[128:129], v[154:155], v[134:135]
	v_fma_f64 v[134:135], v[77:78], s[0:1], -v[166:167]
	v_fma_f64 v[77:78], v[77:78], s[14:15], -v[176:177]
	;; [unrolled: 1-line block ×3, first 2 shown]
	v_add_f64 v[18:19], v[95:96], v[18:19]
	v_fma_f64 v[95:96], v[75:76], s[4:5], -v[182:183]
	v_mul_f64 v[160:161], v[69:70], s[28:29]
	v_add_f64 v[124:125], v[148:149], v[140:141]
	v_mul_f64 v[87:88], v[87:88], s[30:31]
	v_fma_f64 v[148:149], v[50:51], s[4:5], v[186:187]
	v_mul_f64 v[85:86], v[85:86], s[30:31]
	v_fma_f64 v[34:35], v[75:76], s[20:21], v[34:35]
	v_fma_f64 v[146:147], v[46:47], s[4:5], -v[162:163]
	v_add_f64 v[8:9], v[122:123], v[8:9]
	v_fma_f64 v[162:163], v[75:76], s[0:1], v[178:179]
	v_add_f64 v[93:94], v[93:94], v[103:104]
	v_fma_f64 v[103:104], v[50:51], s[0:1], -v[130:131]
	v_fma_f64 v[107:108], v[50:51], s[20:21], -v[107:108]
	v_add_f64 v[26:27], v[26:27], v[150:151]
	v_fma_f64 v[75:76], v[75:76], s[22:23], v[101:102]
	v_add_f64 v[2:3], v[79:80], v[2:3]
	v_fma_f64 v[50:51], v[50:51], s[22:23], -v[97:98]
	v_mul_f64 v[144:145], v[83:84], s[24:25]
	v_add_f64 v[134:135], v[134:135], v[142:143]
	v_add_f64 v[0:1], v[77:78], v[0:1]
	;; [unrolled: 1-line block ×3, first 2 shown]
	v_fma_f64 v[138:139], v[71:72], s[20:21], -v[156:157]
	v_add_f64 v[18:19], v[95:96], v[18:19]
	v_fma_f64 v[95:96], v[40:41], s[20:21], -v[160:161]
	v_fma_f64 v[154:155], v[40:41], s[20:21], v[160:161]
	v_mul_f64 v[122:123], v[81:82], s[24:25]
	v_mul_f64 v[160:161], v[83:84], s[18:19]
	;; [unrolled: 1-line block ×3, first 2 shown]
	v_add_f64 v[10:11], v[148:149], v[10:11]
	v_fma_f64 v[148:149], v[71:72], s[22:23], v[87:88]
	v_mul_f64 v[83:84], v[83:84], s[26:27]
	v_fma_f64 v[101:102], v[48:49], s[22:23], -v[85:86]
	v_mul_f64 v[81:82], v[81:82], s[26:27]
	v_fma_f64 v[87:88], v[71:72], s[22:23], -v[87:88]
	v_fma_f64 v[85:86], v[48:49], s[22:23], v[85:86]
	v_add_f64 v[8:9], v[34:35], v[8:9]
	v_fma_f64 v[32:33], v[71:72], s[4:5], v[32:33]
	v_add_f64 v[93:94], v[103:104], v[93:94]
	v_fma_f64 v[103:104], v[48:49], s[8:9], -v[132:133]
	v_add_f64 v[170:171], v[170:171], v[188:189]
	v_add_f64 v[26:27], v[162:163], v[26:27]
	v_fma_f64 v[99:100], v[71:72], s[8:9], v[99:100]
	v_add_f64 v[34:35], v[107:108], v[134:135]
	v_fma_f64 v[107:108], v[48:49], s[4:5], -v[109:110]
	v_fma_f64 v[71:72], v[71:72], s[20:21], v[156:157]
	v_add_f64 v[2:3], v[75:76], v[2:3]
	v_fma_f64 v[48:49], v[48:49], s[20:21], -v[158:159]
	v_add_f64 v[0:1], v[50:51], v[0:1]
	v_add_f64 v[91:92], v[138:139], v[136:137]
	v_fma_f64 v[79:80], v[42:43], s[22:23], -v[144:145]
	v_fma_f64 v[97:98], v[46:47], s[22:23], v[122:123]
	v_fma_f64 v[77:78], v[42:43], s[8:9], -v[160:161]
	v_fma_f64 v[109:110], v[46:47], s[8:9], v[130:131]
	v_mul_f64 v[132:133], v[73:74], s[6:7]
	v_mul_f64 v[134:135], v[69:70], s[6:7]
	;; [unrolled: 1-line block ×5, first 2 shown]
	v_add_f64 v[128:129], v[148:149], v[128:129]
	v_fma_f64 v[148:149], v[42:43], s[0:1], v[83:84]
	v_add_f64 v[22:23], v[101:102], v[22:23]
	v_fma_f64 v[101:102], v[46:47], s[0:1], -v[81:82]
	v_add_f64 v[18:19], v[87:88], v[18:19]
	v_fma_f64 v[75:76], v[42:43], s[0:1], -v[83:84]
	v_add_f64 v[10:11], v[85:86], v[10:11]
	v_fma_f64 v[50:51], v[46:47], s[0:1], v[81:82]
	v_add_f64 v[8:9], v[32:33], v[8:9]
	v_fma_f64 v[32:33], v[42:43], s[14:15], v[36:37]
	v_add_f64 v[81:82], v[103:104], v[93:94]
	v_fma_f64 v[83:84], v[46:47], s[22:23], -v[122:123]
	v_mul_f64 v[73:74], v[73:74], s[16:17]
	v_mul_f64 v[69:70], v[69:70], s[16:17]
	v_add_f64 v[170:171], v[198:199], v[170:171]
	v_add_f64 v[26:27], v[99:100], v[26:27]
	v_fma_f64 v[36:37], v[42:43], s[22:23], v[144:145]
	v_add_f64 v[34:35], v[107:108], v[34:35]
	v_fma_f64 v[28:29], v[46:47], s[14:15], -v[28:29]
	v_fma_f64 v[42:43], v[42:43], s[8:9], v[160:161]
	v_add_f64 v[2:3], v[71:72], v[2:3]
	v_fma_f64 v[46:47], v[46:47], s[8:9], -v[130:131]
	v_add_f64 v[0:1], v[48:49], v[0:1]
	v_add_f64 v[24:25], v[79:80], v[24:25]
	v_add_f64 v[79:80], v[97:98], v[89:90]
	v_add_f64 v[77:78], v[77:78], v[91:92]
	v_add_f64 v[71:72], v[109:110], v[124:125]
	v_fma_f64 v[48:49], v[44:45], s[0:1], -v[132:133]
	v_fma_f64 v[89:90], v[40:41], s[0:1], v[134:135]
	v_fma_f64 v[85:86], v[44:45], s[4:5], -v[30:31]
	v_fma_f64 v[87:88], v[40:41], s[4:5], v[111:112]
	;; [unrolled: 2-line block ×3, first 2 shown]
	v_add_f64 v[75:76], v[75:76], v[18:19]
	v_add_f64 v[50:51], v[50:51], v[10:11]
	;; [unrolled: 1-line block ×4, first 2 shown]
	v_fma_f64 v[32:33], v[44:45], s[14:15], -v[73:74]
	v_fma_f64 v[83:84], v[40:41], s[14:15], v[69:70]
	v_fma_f64 v[140:141], v[44:45], s[20:21], v[152:153]
	v_fma_f64 v[152:153], v[44:45], s[20:21], -v[152:153]
	v_fma_f64 v[105:106], v[44:45], s[22:23], -v[105:106]
	v_fma_f64 v[38:39], v[40:41], s[22:23], v[38:39]
	v_add_f64 v[146:147], v[146:147], v[170:171]
	v_add_f64 v[91:92], v[148:149], v[128:129]
	;; [unrolled: 1-line block ×4, first 2 shown]
	v_fma_f64 v[36:37], v[44:45], s[14:15], v[73:74]
	v_fma_f64 v[69:70], v[40:41], s[14:15], -v[69:70]
	v_add_f64 v[99:100], v[28:29], v[34:35]
	v_fma_f64 v[73:74], v[44:45], s[8:9], v[136:137]
	v_fma_f64 v[103:104], v[44:45], s[4:5], v[30:31]
	v_fma_f64 v[107:108], v[44:45], s[0:1], v[132:133]
	v_fma_f64 v[44:45], v[40:41], s[8:9], -v[138:139]
	v_fma_f64 v[111:112], v[40:41], s[4:5], -v[111:112]
	v_add_f64 v[109:110], v[42:43], v[2:3]
	v_fma_f64 v[122:123], v[40:41], s[0:1], -v[134:135]
	v_add_f64 v[124:125], v[46:47], v[0:1]
	v_add_f64 v[30:31], v[48:49], v[77:78]
	;; [unrolled: 1-line block ×23, first 2 shown]
	v_mad_u32_u24 v67, 0xc0, v56, v113
	ds_write_b128 v67, v[4:7]
	ds_write_b128 v67, v[28:31] offset:16
	ds_write_b128 v67, v[24:27] offset:32
	;; [unrolled: 1-line block ×12, first 2 shown]
.LBB0_21:
	s_or_b32 exec_lo, exec_lo, s33
	v_and_b32_e32 v0, 0xff, v56
	v_mov_b32_e32 v1, 0x4ec5
	s_waitcnt lgkmcnt(0)
	s_barrier
	buffer_gl0_inv
	v_mul_lo_u16 v4, 0x4f, v0
	v_mul_u32_u24_sdwa v3, v68, v1 dst_sel:DWORD dst_unused:UNUSED_PAD src0_sel:WORD_0 src1_sel:DWORD
	v_mul_u32_u24_sdwa v2, v65, v1 dst_sel:DWORD dst_unused:UNUSED_PAD src0_sel:WORD_0 src1_sel:DWORD
	;; [unrolled: 1-line block ×3, first 2 shown]
	v_mov_b32_e32 v0, 4
	v_lshrrev_b16 v51, 10, v4
	v_lshrrev_b32_e32 v67, 18, v3
	v_lshrrev_b32_e32 v71, 18, v2
	;; [unrolled: 1-line block ×3, first 2 shown]
	v_lshrrev_b16 v77, 11, v4
	v_mul_lo_u16 v5, v51, 13
	v_mul_lo_u16 v6, v67, 13
	;; [unrolled: 1-line block ×4, first 2 shown]
	v_lshrrev_b32_e32 v78, 19, v3
	v_sub_nc_u16 v5, v56, v5
	v_sub_nc_u16 v6, v68, v6
	;; [unrolled: 1-line block ×4, first 2 shown]
	v_lshrrev_b32_e32 v79, 19, v2
	v_lshlrev_b32_sdwa v73, v0, v5 dst_sel:DWORD dst_unused:UNUSED_PAD src0_sel:DWORD src1_sel:BYTE_0
	v_lshlrev_b32_sdwa v74, v0, v6 dst_sel:DWORD dst_unused:UNUSED_PAD src0_sel:DWORD src1_sel:WORD_0
	v_lshlrev_b32_sdwa v75, v0, v7 dst_sel:DWORD dst_unused:UNUSED_PAD src0_sel:DWORD src1_sel:WORD_0
	;; [unrolled: 1-line block ×3, first 2 shown]
	v_lshrrev_b32_e32 v80, 19, v1
	s_clause 0x3
	global_load_dwordx4 v[5:8], v73, s[12:13]
	global_load_dwordx4 v[9:12], v74, s[12:13]
	;; [unrolled: 1-line block ×4, first 2 shown]
	ds_read_b128 v[21:24], v113 offset:13312
	ds_read_b128 v[25:28], v113 offset:16640
	;; [unrolled: 1-line block ×4, first 2 shown]
	ds_read_b128 v[37:40], v113
	ds_read_b128 v[41:44], v113 offset:3328
	v_lshrrev_b16 v87, 12, v4
	v_lshrrev_b32_e32 v88, 20, v3
	v_lshrrev_b32_e32 v1, 22, v1
	v_mul_lo_u16 v1, 0xd0, v1
	v_sub_nc_u16 v1, v66, v1
	s_waitcnt vmcnt(2) lgkmcnt(4)
	v_mul_f64 v[47:48], v[27:28], v[11:12]
	v_mul_f64 v[45:46], v[23:24], v[7:8]
	;; [unrolled: 1-line block ×4, first 2 shown]
	s_waitcnt vmcnt(1) lgkmcnt(3)
	v_mul_f64 v[49:50], v[31:32], v[15:16]
	v_mul_f64 v[15:16], v[29:30], v[15:16]
	s_waitcnt vmcnt(0) lgkmcnt(2)
	v_mul_f64 v[69:70], v[35:36], v[19:20]
	v_mul_f64 v[19:20], v[33:34], v[19:20]
	v_fma_f64 v[25:26], v[25:26], v[9:10], v[47:48]
	v_fma_f64 v[21:22], v[21:22], v[5:6], v[45:46]
	v_fma_f64 v[23:24], v[23:24], v[5:6], -v[7:8]
	v_fma_f64 v[27:28], v[27:28], v[9:10], -v[11:12]
	v_fma_f64 v[29:30], v[29:30], v[13:14], v[49:50]
	v_fma_f64 v[31:32], v[31:32], v[13:14], -v[15:16]
	v_fma_f64 v[33:34], v[33:34], v[17:18], v[69:70]
	ds_read_b128 v[5:8], v113 offset:6656
	ds_read_b128 v[9:12], v113 offset:9984
	v_fma_f64 v[35:36], v[35:36], v[17:18], -v[19:20]
	v_mul_lo_u16 v48, v77, 26
	v_mul_lo_u16 v49, v78, 26
	;; [unrolled: 1-line block ×3, first 2 shown]
	v_mul_u32_u24_e32 v46, 0x1a0, v67
	v_mul_u32_u24_e32 v47, 0x1a0, v71
	s_waitcnt lgkmcnt(0)
	s_barrier
	buffer_gl0_inv
	v_add_f64 v[17:18], v[41:42], -v[25:26]
	v_add_f64 v[13:14], v[37:38], -v[21:22]
	;; [unrolled: 1-line block ×7, first 2 shown]
	v_mov_b32_e32 v29, 0x1a0
	v_add_f64 v[27:28], v[11:12], -v[35:36]
	v_mul_u32_u24_sdwa v45, v51, v29 dst_sel:DWORD dst_unused:UNUSED_PAD src0_sel:WORD_0 src1_sel:DWORD
	v_mul_lo_u16 v51, v80, 26
	v_fma_f64 v[33:34], v[41:42], 2.0, -v[17:18]
	v_fma_f64 v[29:30], v[37:38], 2.0, -v[13:14]
	;; [unrolled: 1-line block ×4, first 2 shown]
	v_sub_nc_u16 v37, v56, v48
	v_fma_f64 v[5:6], v[5:6], 2.0, -v[21:22]
	v_fma_f64 v[7:8], v[7:8], 2.0, -v[23:24]
	;; [unrolled: 1-line block ×3, first 2 shown]
	v_sub_nc_u16 v38, v68, v49
	v_fma_f64 v[11:12], v[11:12], 2.0, -v[27:28]
	v_sub_nc_u16 v39, v65, v50
	v_mul_u32_u24_e32 v40, 0x1a0, v72
	v_sub_nc_u16 v41, v66, v51
	v_lshlrev_b32_sdwa v51, v0, v37 dst_sel:DWORD dst_unused:UNUSED_PAD src0_sel:DWORD src1_sel:BYTE_0
	v_add3_u32 v37, 0, v45, v73
	v_lshlrev_b32_sdwa v67, v0, v38 dst_sel:DWORD dst_unused:UNUSED_PAD src0_sel:DWORD src1_sel:WORD_0
	v_add3_u32 v38, 0, v46, v74
	v_lshlrev_b32_sdwa v71, v0, v39 dst_sel:DWORD dst_unused:UNUSED_PAD src0_sel:DWORD src1_sel:WORD_0
	v_add3_u32 v39, 0, v47, v75
	v_add3_u32 v40, 0, v40, v76
	v_lshlrev_b32_sdwa v72, v0, v41 dst_sel:DWORD dst_unused:UNUSED_PAD src0_sel:DWORD src1_sel:WORD_0
	ds_write_b128 v37, v[13:16] offset:208
	ds_write_b128 v37, v[29:32]
	ds_write_b128 v38, v[33:36]
	ds_write_b128 v38, v[17:20] offset:208
	ds_write_b128 v39, v[5:8]
	ds_write_b128 v39, v[21:24] offset:208
	ds_write_b128 v40, v[9:12]
	ds_write_b128 v40, v[25:28] offset:208
	s_waitcnt lgkmcnt(0)
	s_barrier
	buffer_gl0_inv
	s_clause 0x3
	global_load_dwordx4 v[5:8], v51, s[12:13] offset:208
	global_load_dwordx4 v[9:12], v67, s[12:13] offset:208
	;; [unrolled: 1-line block ×4, first 2 shown]
	ds_read_b128 v[21:24], v113 offset:13312
	ds_read_b128 v[25:28], v113 offset:16640
	;; [unrolled: 1-line block ×4, first 2 shown]
	ds_read_b128 v[37:40], v113
	ds_read_b128 v[41:44], v113 offset:3328
	s_waitcnt vmcnt(2) lgkmcnt(4)
	v_mul_f64 v[47:48], v[27:28], v[11:12]
	v_mul_f64 v[45:46], v[23:24], v[7:8]
	;; [unrolled: 1-line block ×4, first 2 shown]
	s_waitcnt vmcnt(1) lgkmcnt(3)
	v_mul_f64 v[49:50], v[31:32], v[15:16]
	v_mul_f64 v[15:16], v[29:30], v[15:16]
	s_waitcnt vmcnt(0) lgkmcnt(2)
	v_mul_f64 v[69:70], v[35:36], v[19:20]
	v_mul_f64 v[19:20], v[33:34], v[19:20]
	v_fma_f64 v[25:26], v[25:26], v[9:10], v[47:48]
	v_fma_f64 v[21:22], v[21:22], v[5:6], v[45:46]
	v_fma_f64 v[23:24], v[23:24], v[5:6], -v[7:8]
	v_fma_f64 v[27:28], v[27:28], v[9:10], -v[11:12]
	v_fma_f64 v[29:30], v[29:30], v[13:14], v[49:50]
	v_fma_f64 v[31:32], v[31:32], v[13:14], -v[15:16]
	v_fma_f64 v[33:34], v[33:34], v[17:18], v[69:70]
	ds_read_b128 v[5:8], v113 offset:6656
	ds_read_b128 v[9:12], v113 offset:9984
	v_fma_f64 v[35:36], v[35:36], v[17:18], -v[19:20]
	v_mul_lo_u16 v47, v87, 52
	v_mul_lo_u16 v48, v88, 52
	v_mov_b32_e32 v45, 3
	s_waitcnt lgkmcnt(0)
	s_barrier
	v_sub_nc_u16 v89, v56, v47
	v_sub_nc_u16 v90, v68, v48
	buffer_gl0_inv
	v_add_f64 v[17:18], v[41:42], -v[25:26]
	v_add_f64 v[13:14], v[37:38], -v[21:22]
	;; [unrolled: 1-line block ×7, first 2 shown]
	v_mov_b32_e32 v29, 0x340
	v_add_f64 v[27:28], v[11:12], -v[35:36]
	v_mul_u32_u24_sdwa v46, v77, v29 dst_sel:DWORD dst_unused:UNUSED_PAD src0_sel:WORD_0 src1_sel:DWORD
	v_fma_f64 v[33:34], v[41:42], 2.0, -v[17:18]
	v_fma_f64 v[29:30], v[37:38], 2.0, -v[13:14]
	;; [unrolled: 1-line block ×4, first 2 shown]
	v_mul_u32_u24_sdwa v38, v89, v45 dst_sel:DWORD dst_unused:UNUSED_PAD src0_sel:BYTE_0 src1_sel:DWORD
	v_fma_f64 v[3:4], v[5:6], 2.0, -v[21:22]
	v_fma_f64 v[5:6], v[7:8], 2.0, -v[23:24]
	;; [unrolled: 1-line block ×3, first 2 shown]
	v_mul_u32_u24_e32 v37, 0x340, v80
	v_fma_f64 v[9:10], v[11:12], 2.0, -v[27:28]
	v_mul_u32_u24_e32 v11, 0x340, v78
	v_mul_u32_u24_e32 v12, 0x340, v79
	v_mul_u32_u24_sdwa v39, v90, v45 dst_sel:DWORD dst_unused:UNUSED_PAD src0_sel:WORD_0 src1_sel:DWORD
	v_add3_u32 v40, 0, v46, v51
	v_lshlrev_b32_e32 v38, 4, v38
	v_add3_u32 v11, 0, v11, v67
	v_add3_u32 v12, 0, v12, v71
	v_add3_u32 v37, 0, v37, v72
	ds_write_b128 v40, v[13:16] offset:416
	ds_write_b128 v40, v[29:32]
	ds_write_b128 v11, v[33:36]
	ds_write_b128 v11, v[17:20] offset:416
	ds_write_b128 v12, v[3:6]
	ds_write_b128 v12, v[21:24] offset:416
	;; [unrolled: 2-line block ×3, first 2 shown]
	v_lshlrev_b32_e32 v23, 4, v39
	s_waitcnt lgkmcnt(0)
	s_barrier
	buffer_gl0_inv
	s_clause 0x5
	global_load_dwordx4 v[3:6], v38, s[12:13] offset:624
	global_load_dwordx4 v[7:10], v38, s[12:13] offset:640
	;; [unrolled: 1-line block ×6, first 2 shown]
	ds_read_b128 v[27:30], v113 offset:6656
	ds_read_b128 v[31:34], v113 offset:13312
	;; [unrolled: 1-line block ×6, first 2 shown]
	ds_read_b128 v[67:70], v113
	ds_read_b128 v[71:74], v113 offset:3328
	s_waitcnt vmcnt(0) lgkmcnt(0)
	s_barrier
	buffer_gl0_inv
	v_mul_f64 v[77:78], v[33:34], v[9:10]
	v_mul_f64 v[9:10], v[31:32], v[9:10]
	;; [unrolled: 1-line block ×12, first 2 shown]
	v_fma_f64 v[27:28], v[27:28], v[3:4], v[75:76]
	v_fma_f64 v[3:4], v[29:30], v[3:4], -v[5:6]
	v_fma_f64 v[5:6], v[31:32], v[7:8], v[77:78]
	v_fma_f64 v[7:8], v[33:34], v[7:8], -v[9:10]
	;; [unrolled: 2-line block ×6, first 2 shown]
	v_mov_b32_e32 v35, 0xd00
	v_lshlrev_b32_sdwa v49, v0, v1 dst_sel:DWORD dst_unused:UNUSED_PAD src0_sel:DWORD src1_sel:WORD_0
	v_lshlrev_b32_sdwa v47, v0, v90 dst_sel:DWORD dst_unused:UNUSED_PAD src0_sel:DWORD src1_sel:WORD_0
	v_add_f64 v[25:26], v[67:68], -v[5:6]
	v_add_f64 v[29:30], v[69:70], -v[7:8]
	;; [unrolled: 1-line block ×8, first 2 shown]
	v_fma_f64 v[33:34], v[67:68], 2.0, -v[25:26]
	v_fma_f64 v[38:39], v[69:70], 2.0, -v[29:30]
	;; [unrolled: 1-line block ×4, first 2 shown]
	v_lshrrev_b32_e32 v4, 22, v2
	v_add_f64 v[6:7], v[29:30], -v[6:7]
	v_fma_f64 v[40:41], v[71:72], 2.0, -v[31:32]
	v_fma_f64 v[42:43], v[73:74], 2.0, -v[36:37]
	;; [unrolled: 1-line block ×4, first 2 shown]
	v_mul_lo_u16 v46, 0xd0, v4
	v_add_f64 v[4:5], v[25:26], v[8:9]
	v_add_f64 v[8:9], v[31:32], v[17:18]
	v_add_f64 v[10:11], v[36:37], -v[10:11]
	v_add_co_u32 v2, s0, s12, v63
	v_add_co_ci_u32_e64 v3, s0, s13, v64, s0
	v_add_co_u32 v44, s0, 0x800, v2
	v_add_co_ci_u32_e64 v45, s0, 0, v3, s0
	v_add_f64 v[12:13], v[33:34], -v[19:20]
	v_add_f64 v[14:15], v[38:39], -v[21:22]
	v_mul_u32_u24_sdwa v20, v87, v35 dst_sel:DWORD dst_unused:UNUSED_PAD src0_sel:WORD_0 src1_sel:DWORD
	v_sub_nc_u16 v21, v65, v46
	v_lshlrev_b32_sdwa v22, v0, v89 dst_sel:DWORD dst_unused:UNUSED_PAD src0_sel:DWORD src1_sel:BYTE_0
	v_mul_u32_u24_e32 v46, 0xd00, v88
	v_add_f64 v[16:17], v[40:41], -v[23:24]
	v_add_f64 v[18:19], v[42:43], -v[27:28]
	v_lshlrev_b32_sdwa v48, v0, v21 dst_sel:DWORD dst_unused:UNUSED_PAD src0_sel:DWORD src1_sel:WORD_0
	v_add3_u32 v50, 0, v20, v22
	v_fma_f64 v[20:21], v[25:26], 2.0, -v[4:5]
	v_fma_f64 v[22:23], v[29:30], 2.0, -v[6:7]
	;; [unrolled: 1-line block ×4, first 2 shown]
	v_add_co_u32 v0, s0, s12, v48
	v_add_co_ci_u32_e64 v1, null, s13, 0, s0
	v_add_co_u32 v37, s0, s12, v49
	v_add3_u32 v36, 0, v46, v47
	v_fma_f64 v[28:29], v[33:34], 2.0, -v[12:13]
	v_fma_f64 v[30:31], v[38:39], 2.0, -v[14:15]
	v_add_co_ci_u32_e64 v38, null, s13, 0, s0
	v_add_co_u32 v0, s0, 0x800, v0
	v_fma_f64 v[32:33], v[40:41], 2.0, -v[16:17]
	v_fma_f64 v[34:35], v[42:43], 2.0, -v[18:19]
	v_add_co_ci_u32_e64 v1, s0, 0, v1, s0
	ds_write_b128 v50, v[4:7] offset:2496
	ds_write_b128 v50, v[20:23] offset:832
	;; [unrolled: 1-line block ×3, first 2 shown]
	ds_write_b128 v50, v[28:31]
	ds_write_b128 v36, v[32:35]
	ds_write_b128 v36, v[24:27] offset:832
	ds_write_b128 v36, v[16:19] offset:1664
	;; [unrolled: 1-line block ×3, first 2 shown]
	v_add_co_u32 v12, s0, 0x800, v37
	v_add_co_ci_u32_e64 v13, s0, 0, v38, s0
	s_waitcnt lgkmcnt(0)
	s_barrier
	buffer_gl0_inv
	s_clause 0x2
	global_load_dwordx4 v[4:7], v[44:45], off offset:1072
	global_load_dwordx4 v[8:11], v[0:1], off offset:1072
	;; [unrolled: 1-line block ×3, first 2 shown]
	ds_read_b128 v[16:19], v113 offset:13312
	ds_read_b128 v[20:23], v113 offset:16640
	;; [unrolled: 1-line block ×4, first 2 shown]
	ds_read_b128 v[32:35], v113
	ds_read_b128 v[36:39], v113 offset:3328
	s_waitcnt vmcnt(2) lgkmcnt(5)
	v_mul_f64 v[0:1], v[18:19], v[6:7]
	v_mul_f64 v[40:41], v[16:17], v[6:7]
	s_waitcnt lgkmcnt(4)
	v_mul_f64 v[42:43], v[22:23], v[6:7]
	v_mul_f64 v[6:7], v[20:21], v[6:7]
	s_waitcnt vmcnt(1) lgkmcnt(3)
	v_mul_f64 v[44:45], v[26:27], v[10:11]
	v_mul_f64 v[10:11], v[24:25], v[10:11]
	s_waitcnt vmcnt(0) lgkmcnt(2)
	v_mul_f64 v[46:47], v[30:31], v[14:15]
	v_mul_f64 v[14:15], v[28:29], v[14:15]
	v_fma_f64 v[0:1], v[16:17], v[4:5], v[0:1]
	v_fma_f64 v[16:17], v[18:19], v[4:5], -v[40:41]
	v_fma_f64 v[18:19], v[20:21], v[4:5], v[42:43]
	v_fma_f64 v[20:21], v[22:23], v[4:5], -v[6:7]
	;; [unrolled: 2-line block ×3, first 2 shown]
	v_fma_f64 v[26:27], v[28:29], v[12:13], v[46:47]
	ds_read_b128 v[4:7], v113 offset:6656
	ds_read_b128 v[8:11], v113 offset:9984
	v_fma_f64 v[28:29], v[30:31], v[12:13], -v[14:15]
	v_add_co_u32 v46, s0, s12, v61
	v_add_co_ci_u32_e64 v47, s0, s13, v62, s0
	s_waitcnt lgkmcnt(0)
	s_barrier
	buffer_gl0_inv
	v_add_f64 v[12:13], v[32:33], -v[0:1]
	v_add_f64 v[14:15], v[34:35], -v[16:17]
	;; [unrolled: 1-line block ×4, first 2 shown]
	v_add_co_u32 v0, s0, 0x1800, v2
	v_add_f64 v[20:21], v[4:5], -v[22:23]
	v_add_f64 v[22:23], v[6:7], -v[24:25]
	;; [unrolled: 1-line block ×4, first 2 shown]
	v_add_co_ci_u32_e64 v1, s0, 0, v3, s0
	v_fma_f64 v[28:29], v[32:33], 2.0, -v[12:13]
	v_fma_f64 v[30:31], v[34:35], 2.0, -v[14:15]
	;; [unrolled: 1-line block ×4, first 2 shown]
	v_add_co_u32 v36, s0, 0x1800, v46
	v_fma_f64 v[4:5], v[4:5], 2.0, -v[20:21]
	v_fma_f64 v[6:7], v[6:7], 2.0, -v[22:23]
	;; [unrolled: 1-line block ×4, first 2 shown]
	v_add_co_ci_u32_e64 v37, s0, 0, v47, s0
	v_add_nc_u32_e32 v38, 0, v48
	v_add_nc_u32_e32 v39, 0, v49
	ds_write_b128 v113, v[12:15] offset:3328
	ds_write_b128 v113, v[16:19] offset:9984
	ds_write_b128 v113, v[28:31]
	ds_write_b128 v113, v[32:35] offset:6656
	ds_write_b128 v38, v[4:7] offset:13312
	;; [unrolled: 1-line block ×5, first 2 shown]
	s_waitcnt lgkmcnt(0)
	s_barrier
	buffer_gl0_inv
	s_clause 0x1
	global_load_dwordx4 v[4:7], v[0:1], off offset:304
	global_load_dwordx4 v[8:11], v[36:37], off offset:304
	ds_read_b128 v[12:15], v113 offset:13312
	ds_read_b128 v[16:19], v113 offset:16640
	ds_read_b128 v[20:23], v113 offset:19968
	ds_read_b128 v[24:27], v113 offset:23296
	ds_read_b128 v[28:31], v113
	ds_read_b128 v[32:35], v113 offset:3328
	s_waitcnt vmcnt(1) lgkmcnt(5)
	v_mul_f64 v[0:1], v[14:15], v[6:7]
	v_mul_f64 v[36:37], v[12:13], v[6:7]
	s_waitcnt vmcnt(0) lgkmcnt(4)
	v_mul_f64 v[38:39], v[18:19], v[10:11]
	v_mul_f64 v[40:41], v[16:17], v[10:11]
	s_waitcnt lgkmcnt(3)
	v_mul_f64 v[42:43], v[22:23], v[6:7]
	v_mul_f64 v[6:7], v[20:21], v[6:7]
	s_waitcnt lgkmcnt(2)
	v_mul_f64 v[44:45], v[26:27], v[10:11]
	v_mul_f64 v[10:11], v[24:25], v[10:11]
	v_fma_f64 v[0:1], v[12:13], v[4:5], v[0:1]
	v_fma_f64 v[14:15], v[14:15], v[4:5], -v[36:37]
	v_fma_f64 v[16:17], v[16:17], v[8:9], v[38:39]
	v_fma_f64 v[18:19], v[18:19], v[8:9], -v[40:41]
	;; [unrolled: 2-line block ×4, first 2 shown]
	ds_read_b128 v[4:7], v113 offset:6656
	ds_read_b128 v[8:11], v113 offset:9984
	v_add_co_u32 v38, s0, s12, v57
	v_add_co_ci_u32_e64 v39, s0, s13, v58, s0
	v_add_co_u32 v40, s0, s12, v59
	v_add_co_ci_u32_e64 v41, s0, s13, v60, s0
	s_waitcnt lgkmcnt(0)
	s_barrier
	buffer_gl0_inv
	v_add_f64 v[12:13], v[28:29], -v[0:1]
	v_add_f64 v[14:15], v[30:31], -v[14:15]
	;; [unrolled: 1-line block ×4, first 2 shown]
	v_add_co_u32 v0, s0, 0x3000, v2
	v_add_f64 v[20:21], v[4:5], -v[20:21]
	v_add_f64 v[22:23], v[6:7], -v[22:23]
	v_add_f64 v[24:25], v[8:9], -v[24:25]
	v_add_f64 v[26:27], v[10:11], -v[26:27]
	v_add_co_ci_u32_e64 v1, s0, 0, v3, s0
	v_add_co_u32 v36, s0, 0x3000, v46
	v_add_co_ci_u32_e64 v37, s0, 0, v47, s0
	v_add_co_u32 v38, s0, 0x3000, v38
	v_add_co_ci_u32_e64 v39, s0, 0, v39, s0
	v_fma_f64 v[28:29], v[28:29], 2.0, -v[12:13]
	v_fma_f64 v[30:31], v[30:31], 2.0, -v[14:15]
	;; [unrolled: 1-line block ×8, first 2 shown]
	ds_write_b128 v113, v[12:15] offset:6656
	ds_write_b128 v113, v[16:19] offset:9984
	;; [unrolled: 1-line block ×4, first 2 shown]
	ds_write_b128 v113, v[28:31]
	ds_write_b128 v113, v[32:35] offset:3328
	ds_write_b128 v113, v[4:7] offset:13312
	;; [unrolled: 1-line block ×3, first 2 shown]
	v_add_co_u32 v12, s0, 0x3000, v40
	s_waitcnt lgkmcnt(0)
	s_barrier
	buffer_gl0_inv
	global_load_dwordx4 v[0:3], v[0:1], off offset:816
	v_add_co_ci_u32_e64 v13, s0, 0, v41, s0
	s_clause 0x2
	global_load_dwordx4 v[4:7], v[36:37], off offset:816
	global_load_dwordx4 v[8:11], v[38:39], off offset:816
	;; [unrolled: 1-line block ×3, first 2 shown]
	ds_read_b128 v[16:19], v113 offset:13312
	ds_read_b128 v[20:23], v113 offset:16640
	;; [unrolled: 1-line block ×4, first 2 shown]
	ds_read_b128 v[32:35], v113
	ds_read_b128 v[36:39], v113 offset:3328
	s_waitcnt vmcnt(3) lgkmcnt(5)
	v_mul_f64 v[40:41], v[18:19], v[2:3]
	v_mul_f64 v[2:3], v[16:17], v[2:3]
	s_waitcnt vmcnt(2) lgkmcnt(4)
	v_mul_f64 v[42:43], v[22:23], v[6:7]
	v_mul_f64 v[6:7], v[20:21], v[6:7]
	;; [unrolled: 3-line block ×4, first 2 shown]
	v_fma_f64 v[16:17], v[16:17], v[0:1], v[40:41]
	v_fma_f64 v[18:19], v[18:19], v[0:1], -v[2:3]
	v_fma_f64 v[20:21], v[20:21], v[4:5], v[42:43]
	v_fma_f64 v[22:23], v[22:23], v[4:5], -v[6:7]
	;; [unrolled: 2-line block ×4, first 2 shown]
	ds_read_b128 v[0:3], v113 offset:6656
	ds_read_b128 v[4:7], v113 offset:9984
	s_waitcnt lgkmcnt(0)
	s_barrier
	buffer_gl0_inv
	v_add_f64 v[8:9], v[32:33], -v[16:17]
	v_add_f64 v[10:11], v[34:35], -v[18:19]
	;; [unrolled: 1-line block ×8, first 2 shown]
	v_fma_f64 v[24:25], v[32:33], 2.0, -v[8:9]
	v_fma_f64 v[26:27], v[34:35], 2.0, -v[10:11]
	;; [unrolled: 1-line block ×8, first 2 shown]
	ds_write_b128 v113, v[8:11] offset:13312
	ds_write_b128 v113, v[12:15] offset:16640
	ds_write_b128 v113, v[16:19] offset:19968
	ds_write_b128 v113, v[20:23] offset:23296
	ds_write_b128 v113, v[24:27]
	ds_write_b128 v113, v[28:31] offset:3328
	ds_write_b128 v113, v[0:3] offset:6656
	;; [unrolled: 1-line block ×3, first 2 shown]
	s_waitcnt lgkmcnt(0)
	s_barrier
	buffer_gl0_inv
	s_and_saveexec_b32 s0, vcc_lo
	s_cbranch_execz .LBB0_23
; %bb.22:
	v_mul_lo_u32 v2, s3, v54
	v_mul_lo_u32 v3, s2, v55
	v_mad_u64_u32 v[0:1], null, s2, v54, 0
	v_lshl_add_u32 v18, v56, 4, 0
	v_mov_b32_e32 v57, 0
	v_lshlrev_b64 v[8:9], 4, v[52:53]
	v_add_nc_u32_e32 v12, 0xd0, v56
	v_add_nc_u32_e32 v14, 0x1a0, v56
	;; [unrolled: 1-line block ×3, first 2 shown]
	v_add3_u32 v1, v1, v3, v2
	v_lshlrev_b64 v[16:17], 4, v[56:57]
	v_mov_b32_e32 v13, v57
	v_mov_b32_e32 v15, v57
	;; [unrolled: 1-line block ×3, first 2 shown]
	v_lshlrev_b64 v[10:11], 4, v[0:1]
	ds_read_b128 v[0:3], v18
	ds_read_b128 v[4:7], v18 offset:3328
	v_lshlrev_b64 v[12:13], 4, v[12:13]
	v_lshlrev_b64 v[14:15], 4, v[14:15]
	;; [unrolled: 1-line block ×3, first 2 shown]
	v_add_co_u32 v10, vcc_lo, s10, v10
	v_add_co_ci_u32_e32 v11, vcc_lo, s11, v11, vcc_lo
	v_add_co_u32 v30, vcc_lo, v10, v8
	v_add_co_ci_u32_e32 v31, vcc_lo, v11, v9, vcc_lo
	ds_read_b128 v[8:11], v18 offset:6656
	v_add_co_u32 v16, vcc_lo, v30, v16
	v_add_co_ci_u32_e32 v17, vcc_lo, v31, v17, vcc_lo
	s_waitcnt lgkmcnt(2)
	global_store_dwordx4 v[16:17], v[0:3], off
	v_add_co_u32 v0, vcc_lo, v30, v12
	v_add_co_ci_u32_e32 v1, vcc_lo, v31, v13, vcc_lo
	v_add_nc_u32_e32 v2, 0x270, v56
	v_mov_b32_e32 v3, v57
	v_add_co_u32 v12, vcc_lo, v30, v14
	v_add_co_ci_u32_e32 v13, vcc_lo, v31, v15, vcc_lo
	v_add_nc_u32_e32 v14, 0x340, v56
	v_mov_b32_e32 v15, v57
	v_lshlrev_b64 v[16:17], 4, v[2:3]
	s_waitcnt lgkmcnt(1)
	global_store_dwordx4 v[0:1], v[4:7], off
	ds_read_b128 v[0:3], v18 offset:9984
	s_waitcnt lgkmcnt(1)
	global_store_dwordx4 v[12:13], v[8:11], off
	v_lshlrev_b64 v[4:5], 4, v[14:15]
	v_add_nc_u32_e32 v12, 0x410, v56
	v_add_co_u32 v20, vcc_lo, v30, v16
	v_mov_b32_e32 v13, v57
	v_add_co_ci_u32_e32 v21, vcc_lo, v31, v17, vcc_lo
	v_add_co_u32 v22, vcc_lo, v30, v4
	v_add_co_ci_u32_e32 v23, vcc_lo, v31, v5, vcc_lo
	ds_read_b128 v[4:7], v18 offset:13312
	ds_read_b128 v[8:11], v18 offset:16640
	v_lshlrev_b64 v[26:27], 4, v[12:13]
	ds_read_b128 v[12:15], v18 offset:19968
	ds_read_b128 v[16:19], v18 offset:23296
	v_add_nc_u32_e32 v56, 0x5b0, v56
	v_add_co_u32 v26, vcc_lo, v30, v26
	v_lshlrev_b64 v[28:29], 4, v[56:57]
	v_add_co_ci_u32_e32 v27, vcc_lo, v31, v27, vcc_lo
	v_add_co_u32 v24, vcc_lo, v30, v24
	v_add_co_ci_u32_e32 v25, vcc_lo, v31, v25, vcc_lo
	v_add_co_u32 v28, vcc_lo, v30, v28
	v_add_co_ci_u32_e32 v29, vcc_lo, v31, v29, vcc_lo
	s_waitcnt lgkmcnt(4)
	global_store_dwordx4 v[20:21], v[0:3], off
	s_waitcnt lgkmcnt(3)
	global_store_dwordx4 v[22:23], v[4:7], off
	;; [unrolled: 2-line block ×5, first 2 shown]
.LBB0_23:
	s_endpgm
	.section	.rodata,"a",@progbits
	.p2align	6, 0x0
	.amdhsa_kernel fft_rtc_back_len1664_factors_13_2_2_4_2_2_2_wgs_208_tpt_208_halfLds_dp_op_CI_CI_unitstride_sbrr_C2R_dirReg
		.amdhsa_group_segment_fixed_size 0
		.amdhsa_private_segment_fixed_size 0
		.amdhsa_kernarg_size 104
		.amdhsa_user_sgpr_count 6
		.amdhsa_user_sgpr_private_segment_buffer 1
		.amdhsa_user_sgpr_dispatch_ptr 0
		.amdhsa_user_sgpr_queue_ptr 0
		.amdhsa_user_sgpr_kernarg_segment_ptr 1
		.amdhsa_user_sgpr_dispatch_id 0
		.amdhsa_user_sgpr_flat_scratch_init 0
		.amdhsa_user_sgpr_private_segment_size 0
		.amdhsa_wavefront_size32 1
		.amdhsa_uses_dynamic_stack 0
		.amdhsa_system_sgpr_private_segment_wavefront_offset 0
		.amdhsa_system_sgpr_workgroup_id_x 1
		.amdhsa_system_sgpr_workgroup_id_y 0
		.amdhsa_system_sgpr_workgroup_id_z 0
		.amdhsa_system_sgpr_workgroup_info 0
		.amdhsa_system_vgpr_workitem_id 0
		.amdhsa_next_free_vgpr 202
		.amdhsa_next_free_sgpr 40
		.amdhsa_reserve_vcc 1
		.amdhsa_reserve_flat_scratch 0
		.amdhsa_float_round_mode_32 0
		.amdhsa_float_round_mode_16_64 0
		.amdhsa_float_denorm_mode_32 3
		.amdhsa_float_denorm_mode_16_64 3
		.amdhsa_dx10_clamp 1
		.amdhsa_ieee_mode 1
		.amdhsa_fp16_overflow 0
		.amdhsa_workgroup_processor_mode 1
		.amdhsa_memory_ordered 1
		.amdhsa_forward_progress 0
		.amdhsa_shared_vgpr_count 0
		.amdhsa_exception_fp_ieee_invalid_op 0
		.amdhsa_exception_fp_denorm_src 0
		.amdhsa_exception_fp_ieee_div_zero 0
		.amdhsa_exception_fp_ieee_overflow 0
		.amdhsa_exception_fp_ieee_underflow 0
		.amdhsa_exception_fp_ieee_inexact 0
		.amdhsa_exception_int_div_zero 0
	.end_amdhsa_kernel
	.text
.Lfunc_end0:
	.size	fft_rtc_back_len1664_factors_13_2_2_4_2_2_2_wgs_208_tpt_208_halfLds_dp_op_CI_CI_unitstride_sbrr_C2R_dirReg, .Lfunc_end0-fft_rtc_back_len1664_factors_13_2_2_4_2_2_2_wgs_208_tpt_208_halfLds_dp_op_CI_CI_unitstride_sbrr_C2R_dirReg
                                        ; -- End function
	.section	.AMDGPU.csdata,"",@progbits
; Kernel info:
; codeLenInByte = 10796
; NumSgprs: 42
; NumVgprs: 202
; ScratchSize: 0
; MemoryBound: 0
; FloatMode: 240
; IeeeMode: 1
; LDSByteSize: 0 bytes/workgroup (compile time only)
; SGPRBlocks: 5
; VGPRBlocks: 25
; NumSGPRsForWavesPerEU: 42
; NumVGPRsForWavesPerEU: 202
; Occupancy: 4
; WaveLimiterHint : 1
; COMPUTE_PGM_RSRC2:SCRATCH_EN: 0
; COMPUTE_PGM_RSRC2:USER_SGPR: 6
; COMPUTE_PGM_RSRC2:TRAP_HANDLER: 0
; COMPUTE_PGM_RSRC2:TGID_X_EN: 1
; COMPUTE_PGM_RSRC2:TGID_Y_EN: 0
; COMPUTE_PGM_RSRC2:TGID_Z_EN: 0
; COMPUTE_PGM_RSRC2:TIDIG_COMP_CNT: 0
	.text
	.p2alignl 6, 3214868480
	.fill 48, 4, 3214868480
	.type	__hip_cuid_4dbc4bb9e49973a8,@object ; @__hip_cuid_4dbc4bb9e49973a8
	.section	.bss,"aw",@nobits
	.globl	__hip_cuid_4dbc4bb9e49973a8
__hip_cuid_4dbc4bb9e49973a8:
	.byte	0                               ; 0x0
	.size	__hip_cuid_4dbc4bb9e49973a8, 1

	.ident	"AMD clang version 19.0.0git (https://github.com/RadeonOpenCompute/llvm-project roc-6.4.0 25133 c7fe45cf4b819c5991fe208aaa96edf142730f1d)"
	.section	".note.GNU-stack","",@progbits
	.addrsig
	.addrsig_sym __hip_cuid_4dbc4bb9e49973a8
	.amdgpu_metadata
---
amdhsa.kernels:
  - .args:
      - .actual_access:  read_only
        .address_space:  global
        .offset:         0
        .size:           8
        .value_kind:     global_buffer
      - .offset:         8
        .size:           8
        .value_kind:     by_value
      - .actual_access:  read_only
        .address_space:  global
        .offset:         16
        .size:           8
        .value_kind:     global_buffer
      - .actual_access:  read_only
        .address_space:  global
        .offset:         24
        .size:           8
        .value_kind:     global_buffer
      - .actual_access:  read_only
        .address_space:  global
        .offset:         32
        .size:           8
        .value_kind:     global_buffer
      - .offset:         40
        .size:           8
        .value_kind:     by_value
      - .actual_access:  read_only
        .address_space:  global
        .offset:         48
        .size:           8
        .value_kind:     global_buffer
      - .actual_access:  read_only
        .address_space:  global
        .offset:         56
        .size:           8
        .value_kind:     global_buffer
      - .offset:         64
        .size:           4
        .value_kind:     by_value
      - .actual_access:  read_only
        .address_space:  global
        .offset:         72
        .size:           8
        .value_kind:     global_buffer
      - .actual_access:  read_only
        .address_space:  global
        .offset:         80
        .size:           8
        .value_kind:     global_buffer
      - .actual_access:  read_only
        .address_space:  global
        .offset:         88
        .size:           8
        .value_kind:     global_buffer
      - .actual_access:  write_only
        .address_space:  global
        .offset:         96
        .size:           8
        .value_kind:     global_buffer
    .group_segment_fixed_size: 0
    .kernarg_segment_align: 8
    .kernarg_segment_size: 104
    .language:       OpenCL C
    .language_version:
      - 2
      - 0
    .max_flat_workgroup_size: 208
    .name:           fft_rtc_back_len1664_factors_13_2_2_4_2_2_2_wgs_208_tpt_208_halfLds_dp_op_CI_CI_unitstride_sbrr_C2R_dirReg
    .private_segment_fixed_size: 0
    .sgpr_count:     42
    .sgpr_spill_count: 0
    .symbol:         fft_rtc_back_len1664_factors_13_2_2_4_2_2_2_wgs_208_tpt_208_halfLds_dp_op_CI_CI_unitstride_sbrr_C2R_dirReg.kd
    .uniform_work_group_size: 1
    .uses_dynamic_stack: false
    .vgpr_count:     202
    .vgpr_spill_count: 0
    .wavefront_size: 32
    .workgroup_processor_mode: 1
amdhsa.target:   amdgcn-amd-amdhsa--gfx1030
amdhsa.version:
  - 1
  - 2
...

	.end_amdgpu_metadata
